;; amdgpu-corpus repo=ROCm/rocFFT kind=compiled arch=gfx1030 opt=O3
	.text
	.amdgcn_target "amdgcn-amd-amdhsa--gfx1030"
	.amdhsa_code_object_version 6
	.protected	fft_rtc_back_len972_factors_3_6_3_6_3_wgs_162_tpt_162_halfLds_sp_op_CI_CI_unitstride_sbrr_C2R_dirReg ; -- Begin function fft_rtc_back_len972_factors_3_6_3_6_3_wgs_162_tpt_162_halfLds_sp_op_CI_CI_unitstride_sbrr_C2R_dirReg
	.globl	fft_rtc_back_len972_factors_3_6_3_6_3_wgs_162_tpt_162_halfLds_sp_op_CI_CI_unitstride_sbrr_C2R_dirReg
	.p2align	8
	.type	fft_rtc_back_len972_factors_3_6_3_6_3_wgs_162_tpt_162_halfLds_sp_op_CI_CI_unitstride_sbrr_C2R_dirReg,@function
fft_rtc_back_len972_factors_3_6_3_6_3_wgs_162_tpt_162_halfLds_sp_op_CI_CI_unitstride_sbrr_C2R_dirReg: ; @fft_rtc_back_len972_factors_3_6_3_6_3_wgs_162_tpt_162_halfLds_sp_op_CI_CI_unitstride_sbrr_C2R_dirReg
; %bb.0:
	s_clause 0x2
	s_load_dwordx4 s[12:15], s[4:5], 0x0
	s_load_dwordx4 s[8:11], s[4:5], 0x58
	;; [unrolled: 1-line block ×3, first 2 shown]
	v_mul_u32_u24_e32 v1, 0x195, v0
	v_mov_b32_e32 v8, 0
	v_mov_b32_e32 v6, 0
	;; [unrolled: 1-line block ×3, first 2 shown]
	v_add_nc_u32_sdwa v10, s6, v1 dst_sel:DWORD dst_unused:UNUSED_PAD src0_sel:DWORD src1_sel:WORD_1
	v_mov_b32_e32 v11, v8
	s_waitcnt lgkmcnt(0)
	v_cmp_lt_u64_e64 s0, s[14:15], 2
	s_and_b32 vcc_lo, exec_lo, s0
	s_cbranch_vccnz .LBB0_8
; %bb.1:
	s_load_dwordx2 s[0:1], s[4:5], 0x10
	v_mov_b32_e32 v6, 0
	v_mov_b32_e32 v7, 0
	s_add_u32 s2, s18, 8
	s_addc_u32 s3, s19, 0
	v_mov_b32_e32 v1, v6
	s_add_u32 s6, s16, 8
	v_mov_b32_e32 v2, v7
	s_addc_u32 s7, s17, 0
	s_mov_b64 s[22:23], 1
	s_waitcnt lgkmcnt(0)
	s_add_u32 s20, s0, 8
	s_addc_u32 s21, s1, 0
.LBB0_2:                                ; =>This Inner Loop Header: Depth=1
	s_load_dwordx2 s[24:25], s[20:21], 0x0
                                        ; implicit-def: $vgpr3_vgpr4
	s_mov_b32 s0, exec_lo
	s_waitcnt lgkmcnt(0)
	v_or_b32_e32 v9, s25, v11
	v_cmpx_ne_u64_e32 0, v[8:9]
	s_xor_b32 s1, exec_lo, s0
	s_cbranch_execz .LBB0_4
; %bb.3:                                ;   in Loop: Header=BB0_2 Depth=1
	v_cvt_f32_u32_e32 v3, s24
	v_cvt_f32_u32_e32 v4, s25
	s_sub_u32 s0, 0, s24
	s_subb_u32 s26, 0, s25
	v_fmac_f32_e32 v3, 0x4f800000, v4
	v_rcp_f32_e32 v3, v3
	v_mul_f32_e32 v3, 0x5f7ffffc, v3
	v_mul_f32_e32 v4, 0x2f800000, v3
	v_trunc_f32_e32 v4, v4
	v_fmac_f32_e32 v3, 0xcf800000, v4
	v_cvt_u32_f32_e32 v4, v4
	v_cvt_u32_f32_e32 v3, v3
	v_mul_lo_u32 v5, s0, v4
	v_mul_hi_u32 v9, s0, v3
	v_mul_lo_u32 v12, s26, v3
	v_add_nc_u32_e32 v5, v9, v5
	v_mul_lo_u32 v9, s0, v3
	v_add_nc_u32_e32 v5, v5, v12
	v_mul_hi_u32 v12, v3, v9
	v_mul_lo_u32 v13, v3, v5
	v_mul_hi_u32 v14, v3, v5
	v_mul_hi_u32 v15, v4, v9
	v_mul_lo_u32 v9, v4, v9
	v_mul_hi_u32 v16, v4, v5
	v_mul_lo_u32 v5, v4, v5
	v_add_co_u32 v12, vcc_lo, v12, v13
	v_add_co_ci_u32_e32 v13, vcc_lo, 0, v14, vcc_lo
	v_add_co_u32 v9, vcc_lo, v12, v9
	v_add_co_ci_u32_e32 v9, vcc_lo, v13, v15, vcc_lo
	v_add_co_ci_u32_e32 v12, vcc_lo, 0, v16, vcc_lo
	v_add_co_u32 v5, vcc_lo, v9, v5
	v_add_co_ci_u32_e32 v9, vcc_lo, 0, v12, vcc_lo
	v_add_co_u32 v3, vcc_lo, v3, v5
	v_add_co_ci_u32_e32 v4, vcc_lo, v4, v9, vcc_lo
	v_mul_hi_u32 v5, s0, v3
	v_mul_lo_u32 v12, s26, v3
	v_mul_lo_u32 v9, s0, v4
	v_add_nc_u32_e32 v5, v5, v9
	v_mul_lo_u32 v9, s0, v3
	v_add_nc_u32_e32 v5, v5, v12
	v_mul_hi_u32 v12, v3, v9
	v_mul_lo_u32 v13, v3, v5
	v_mul_hi_u32 v14, v3, v5
	v_mul_hi_u32 v15, v4, v9
	v_mul_lo_u32 v9, v4, v9
	v_mul_hi_u32 v16, v4, v5
	v_mul_lo_u32 v5, v4, v5
	v_add_co_u32 v12, vcc_lo, v12, v13
	v_add_co_ci_u32_e32 v13, vcc_lo, 0, v14, vcc_lo
	v_add_co_u32 v9, vcc_lo, v12, v9
	v_add_co_ci_u32_e32 v9, vcc_lo, v13, v15, vcc_lo
	v_add_co_ci_u32_e32 v12, vcc_lo, 0, v16, vcc_lo
	v_add_co_u32 v5, vcc_lo, v9, v5
	v_add_co_ci_u32_e32 v9, vcc_lo, 0, v12, vcc_lo
	v_add_co_u32 v5, vcc_lo, v3, v5
	v_add_co_ci_u32_e32 v9, vcc_lo, v4, v9, vcc_lo
	v_mul_hi_u32 v16, v10, v5
	v_mad_u64_u32 v[12:13], null, v11, v5, 0
	v_mad_u64_u32 v[3:4], null, v10, v9, 0
	;; [unrolled: 1-line block ×3, first 2 shown]
	v_add_co_u32 v3, vcc_lo, v16, v3
	v_add_co_ci_u32_e32 v4, vcc_lo, 0, v4, vcc_lo
	v_add_co_u32 v3, vcc_lo, v3, v12
	v_add_co_ci_u32_e32 v3, vcc_lo, v4, v13, vcc_lo
	v_add_co_ci_u32_e32 v4, vcc_lo, 0, v15, vcc_lo
	v_add_co_u32 v5, vcc_lo, v3, v14
	v_add_co_ci_u32_e32 v9, vcc_lo, 0, v4, vcc_lo
	v_mul_lo_u32 v12, s25, v5
	v_mad_u64_u32 v[3:4], null, s24, v5, 0
	v_mul_lo_u32 v13, s24, v9
	v_sub_co_u32 v3, vcc_lo, v10, v3
	v_add3_u32 v4, v4, v13, v12
	v_sub_nc_u32_e32 v12, v11, v4
	v_subrev_co_ci_u32_e64 v12, s0, s25, v12, vcc_lo
	v_add_co_u32 v13, s0, v5, 2
	v_add_co_ci_u32_e64 v14, s0, 0, v9, s0
	v_sub_co_u32 v15, s0, v3, s24
	v_sub_co_ci_u32_e32 v4, vcc_lo, v11, v4, vcc_lo
	v_subrev_co_ci_u32_e64 v12, s0, 0, v12, s0
	v_cmp_le_u32_e32 vcc_lo, s24, v15
	v_cmp_eq_u32_e64 s0, s25, v4
	v_cndmask_b32_e64 v15, 0, -1, vcc_lo
	v_cmp_le_u32_e32 vcc_lo, s25, v12
	v_cndmask_b32_e64 v16, 0, -1, vcc_lo
	v_cmp_le_u32_e32 vcc_lo, s24, v3
	;; [unrolled: 2-line block ×3, first 2 shown]
	v_cndmask_b32_e64 v17, 0, -1, vcc_lo
	v_cmp_eq_u32_e32 vcc_lo, s25, v12
	v_cndmask_b32_e64 v3, v17, v3, s0
	v_cndmask_b32_e32 v12, v16, v15, vcc_lo
	v_add_co_u32 v15, vcc_lo, v5, 1
	v_add_co_ci_u32_e32 v16, vcc_lo, 0, v9, vcc_lo
	v_cmp_ne_u32_e32 vcc_lo, 0, v12
	v_cndmask_b32_e32 v4, v16, v14, vcc_lo
	v_cndmask_b32_e32 v12, v15, v13, vcc_lo
	v_cmp_ne_u32_e32 vcc_lo, 0, v3
	v_cndmask_b32_e32 v4, v9, v4, vcc_lo
	v_cndmask_b32_e32 v3, v5, v12, vcc_lo
.LBB0_4:                                ;   in Loop: Header=BB0_2 Depth=1
	s_andn2_saveexec_b32 s0, s1
	s_cbranch_execz .LBB0_6
; %bb.5:                                ;   in Loop: Header=BB0_2 Depth=1
	v_cvt_f32_u32_e32 v3, s24
	s_sub_i32 s1, 0, s24
	v_rcp_iflag_f32_e32 v3, v3
	v_mul_f32_e32 v3, 0x4f7ffffe, v3
	v_cvt_u32_f32_e32 v3, v3
	v_mul_lo_u32 v4, s1, v3
	v_mul_hi_u32 v4, v3, v4
	v_add_nc_u32_e32 v3, v3, v4
	v_mul_hi_u32 v3, v10, v3
	v_mul_lo_u32 v4, v3, s24
	v_add_nc_u32_e32 v5, 1, v3
	v_sub_nc_u32_e32 v4, v10, v4
	v_subrev_nc_u32_e32 v9, s24, v4
	v_cmp_le_u32_e32 vcc_lo, s24, v4
	v_cndmask_b32_e32 v4, v4, v9, vcc_lo
	v_cndmask_b32_e32 v3, v3, v5, vcc_lo
	v_cmp_le_u32_e32 vcc_lo, s24, v4
	v_add_nc_u32_e32 v5, 1, v3
	v_mov_b32_e32 v4, v8
	v_cndmask_b32_e32 v3, v3, v5, vcc_lo
.LBB0_6:                                ;   in Loop: Header=BB0_2 Depth=1
	s_or_b32 exec_lo, exec_lo, s0
	v_mul_lo_u32 v5, v4, s24
	v_mul_lo_u32 v9, v3, s25
	s_load_dwordx2 s[0:1], s[6:7], 0x0
	v_mad_u64_u32 v[12:13], null, v3, s24, 0
	s_load_dwordx2 s[24:25], s[2:3], 0x0
	s_add_u32 s22, s22, 1
	s_addc_u32 s23, s23, 0
	s_add_u32 s2, s2, 8
	s_addc_u32 s3, s3, 0
	s_add_u32 s6, s6, 8
	v_add3_u32 v5, v13, v9, v5
	v_sub_co_u32 v9, vcc_lo, v10, v12
	s_addc_u32 s7, s7, 0
	s_add_u32 s20, s20, 8
	v_sub_co_ci_u32_e32 v5, vcc_lo, v11, v5, vcc_lo
	s_addc_u32 s21, s21, 0
	s_waitcnt lgkmcnt(0)
	v_mul_lo_u32 v10, s0, v5
	v_mul_lo_u32 v11, s1, v9
	v_mad_u64_u32 v[6:7], null, s0, v9, v[6:7]
	v_mul_lo_u32 v5, s24, v5
	v_mul_lo_u32 v12, s25, v9
	v_mad_u64_u32 v[1:2], null, s24, v9, v[1:2]
	v_cmp_ge_u64_e64 s0, s[22:23], s[14:15]
	v_add3_u32 v7, v11, v7, v10
	v_add3_u32 v2, v12, v2, v5
	s_and_b32 vcc_lo, exec_lo, s0
	s_cbranch_vccnz .LBB0_9
; %bb.7:                                ;   in Loop: Header=BB0_2 Depth=1
	v_mov_b32_e32 v11, v4
	v_mov_b32_e32 v10, v3
	s_branch .LBB0_2
.LBB0_8:
	v_mov_b32_e32 v1, v6
	v_mov_b32_e32 v3, v10
	;; [unrolled: 1-line block ×4, first 2 shown]
.LBB0_9:
	s_load_dwordx2 s[0:1], s[4:5], 0x28
	v_mul_hi_u32 v8, 0x1948b10, v0
	s_lshl_b64 s[4:5], s[14:15], 3
                                        ; implicit-def: $vgpr5
	s_add_u32 s2, s18, s4
	s_addc_u32 s3, s19, s5
	s_waitcnt lgkmcnt(0)
	v_cmp_gt_u64_e32 vcc_lo, s[0:1], v[3:4]
	v_cmp_le_u64_e64 s0, s[0:1], v[3:4]
	s_and_saveexec_b32 s1, s0
	s_xor_b32 s0, exec_lo, s1
; %bb.10:
	v_mul_u32_u24_e32 v5, 0xa2, v8
                                        ; implicit-def: $vgpr8
                                        ; implicit-def: $vgpr6_vgpr7
	v_sub_nc_u32_e32 v5, v0, v5
                                        ; implicit-def: $vgpr0
; %bb.11:
	s_or_saveexec_b32 s1, s0
	s_load_dwordx2 s[2:3], s[2:3], 0x0
	s_xor_b32 exec_lo, exec_lo, s1
	s_cbranch_execz .LBB0_15
; %bb.12:
	s_add_u32 s4, s16, s4
	s_addc_u32 s5, s17, s5
	v_lshlrev_b64 v[6:7], 3, v[6:7]
	s_load_dwordx2 s[4:5], s[4:5], 0x0
	s_waitcnt lgkmcnt(0)
	v_mul_lo_u32 v5, s5, v3
	v_mul_lo_u32 v11, s4, v4
	v_mad_u64_u32 v[9:10], null, s4, v3, 0
	s_mov_b32 s4, exec_lo
	v_add3_u32 v10, v10, v11, v5
	v_mul_u32_u24_e32 v5, 0xa2, v8
	v_lshlrev_b64 v[8:9], 3, v[9:10]
	v_sub_nc_u32_e32 v5, v0, v5
	v_lshlrev_b32_e32 v19, 3, v5
	v_add_co_u32 v0, s0, s8, v8
	v_add_co_ci_u32_e64 v8, s0, s9, v9, s0
	v_add_co_u32 v0, s0, v0, v6
	v_add_co_ci_u32_e64 v6, s0, v8, v7, s0
	;; [unrolled: 2-line block ×3, first 2 shown]
	v_add_nc_u32_e32 v19, 0, v19
	v_add_co_u32 v9, s0, 0x800, v7
	v_add_co_ci_u32_e64 v10, s0, 0, v8, s0
	v_add_co_u32 v11, s0, 0x1000, v7
	v_add_co_ci_u32_e64 v12, s0, 0, v8, s0
	;; [unrolled: 2-line block ×3, first 2 shown]
	s_clause 0x5
	global_load_dwordx2 v[15:16], v[7:8], off
	global_load_dwordx2 v[7:8], v[7:8], off offset:1296
	global_load_dwordx2 v[17:18], v[9:10], off offset:544
	;; [unrolled: 1-line block ×5, first 2 shown]
	v_add_nc_u32_e32 v20, 0x800, v19
	v_add_nc_u32_e32 v21, 0x1400, v19
	s_waitcnt vmcnt(4)
	ds_write2_b64 v19, v[15:16], v[7:8] offset1:162
	s_waitcnt vmcnt(2)
	ds_write2_b64 v20, v[17:18], v[9:10] offset0:68 offset1:230
	s_waitcnt vmcnt(0)
	ds_write2_b64 v21, v[11:12], v[13:14] offset0:8 offset1:170
	v_cmpx_eq_u32_e32 0xa1, v5
	s_cbranch_execz .LBB0_14
; %bb.13:
	v_add_co_u32 v5, s0, 0x1800, v0
	v_add_co_ci_u32_e64 v6, s0, 0, v6, s0
	v_mov_b32_e32 v0, 0
	global_load_dwordx2 v[6:7], v[5:6], off offset:1632
	v_mov_b32_e32 v5, 0xa1
	s_waitcnt vmcnt(0)
	ds_write_b64 v0, v[6:7] offset:7776
.LBB0_14:
	s_or_b32 exec_lo, exec_lo, s4
.LBB0_15:
	s_or_b32 exec_lo, exec_lo, s1
	v_lshlrev_b32_e32 v6, 3, v5
	s_waitcnt lgkmcnt(0)
	s_barrier
	buffer_gl0_inv
	s_add_u32 s1, s12, 0x1e48
	v_add_nc_u32_e32 v0, 0, v6
	v_sub_nc_u32_e32 v11, 0, v6
	s_addc_u32 s4, s13, 0
	s_mov_b32 s5, exec_lo
                                        ; implicit-def: $vgpr9_vgpr10
	ds_read_b32 v12, v0
	ds_read_b32 v13, v11 offset:7776
	s_waitcnt lgkmcnt(0)
	v_add_f32_e32 v7, v13, v12
	v_sub_f32_e32 v8, v12, v13
	v_cmpx_ne_u32_e32 0, v5
	s_xor_b32 s5, exec_lo, s5
	s_cbranch_execz .LBB0_17
; %bb.16:
	v_mov_b32_e32 v6, 0
	v_add_f32_e32 v14, v13, v12
	v_sub_f32_e32 v15, v12, v13
	v_lshlrev_b64 v[7:8], 3, v[5:6]
	v_add_co_u32 v7, s0, s1, v7
	v_add_co_ci_u32_e64 v8, s0, s4, v8, s0
	global_load_dwordx2 v[9:10], v[7:8], off
	ds_read_b32 v7, v11 offset:7780
	ds_read_b32 v8, v0 offset:4
	s_waitcnt lgkmcnt(0)
	v_add_f32_e32 v16, v7, v8
	v_sub_f32_e32 v7, v8, v7
	s_waitcnt vmcnt(0)
	v_fma_f32 v12, -v15, v10, v14
	v_fma_f32 v13, v16, v10, -v7
	v_fma_f32 v17, v15, v10, v14
	v_fma_f32 v8, v16, v10, v7
	v_fmac_f32_e32 v12, v9, v16
	v_fmac_f32_e32 v13, v15, v9
	v_fma_f32 v7, -v9, v16, v17
	v_fmac_f32_e32 v8, v15, v9
	v_mov_b32_e32 v10, v6
	v_mov_b32_e32 v9, v5
	ds_write_b64 v11, v[12:13] offset:7776
.LBB0_17:
	s_andn2_saveexec_b32 s0, s5
	s_cbranch_execz .LBB0_19
; %bb.18:
	v_mov_b32_e32 v6, 0
	ds_read_b64 v[9:10], v6 offset:3888
	s_waitcnt lgkmcnt(0)
	v_add_f32_e32 v12, v9, v9
	v_mul_f32_e32 v13, -2.0, v10
	v_mov_b32_e32 v9, 0
	v_mov_b32_e32 v10, 0
	ds_write_b64 v6, v[12:13] offset:3888
.LBB0_19:
	s_or_b32 exec_lo, exec_lo, s0
	v_lshlrev_b64 v[9:10], 3, v[9:10]
	ds_write_b64 v0, v[7:8]
	v_and_b32_e32 v31, 0xff, v5
	v_mov_b32_e32 v33, 5
	v_lshl_add_u32 v22, v5, 4, v0
	v_mov_b32_e32 v37, 0x90
	v_add_co_u32 v9, s0, s1, v9
	v_add_co_ci_u32_e64 v10, s0, s4, v10, s0
	v_add_nc_u32_e32 v23, 0xf30, v22
	v_mov_b32_e32 v40, 3
	v_mov_b32_e32 v41, 4
	global_load_dwordx2 v[12:13], v[9:10], off offset:1296
	v_add_co_u32 v9, s0, 0x800, v9
	v_add_co_ci_u32_e64 v10, s0, 0, v10, s0
	global_load_dwordx2 v[9:10], v[9:10], off offset:544
	ds_read_b64 v[6:7], v0 offset:1296
	ds_read_b64 v[14:15], v11 offset:6480
	s_waitcnt lgkmcnt(0)
	v_add_f32_e32 v8, v6, v14
	v_add_f32_e32 v16, v15, v7
	v_sub_f32_e32 v17, v6, v14
	v_sub_f32_e32 v6, v7, v15
	s_waitcnt vmcnt(1)
	v_fma_f32 v18, v17, v13, v8
	v_fma_f32 v7, v16, v13, v6
	v_fma_f32 v14, -v17, v13, v8
	v_fma_f32 v15, v16, v13, -v6
	v_fma_f32 v6, -v12, v16, v18
	v_fmac_f32_e32 v7, v17, v12
	v_fmac_f32_e32 v14, v12, v16
	;; [unrolled: 1-line block ×3, first 2 shown]
	ds_write_b64 v0, v[6:7] offset:1296
	ds_write_b64 v11, v[14:15] offset:6480
	ds_read_b64 v[6:7], v0 offset:2592
	ds_read_b64 v[12:13], v11 offset:5184
	s_waitcnt lgkmcnt(0)
	v_add_f32_e32 v14, v6, v12
	v_add_f32_e32 v15, v13, v7
	v_sub_f32_e32 v6, v6, v12
	v_sub_f32_e32 v7, v7, v13
	s_waitcnt vmcnt(0)
	v_fma_f32 v16, v6, v10, v14
	v_fma_f32 v8, v15, v10, v7
	v_fma_f32 v12, -v6, v10, v14
	v_fma_f32 v13, v15, v10, -v7
	v_mul_lo_u16 v10, 0xab, v31
	v_fma_f32 v7, -v9, v15, v16
	v_fmac_f32_e32 v8, v6, v9
	v_fmac_f32_e32 v12, v9, v15
	v_fmac_f32_e32 v13, v6, v9
	v_add_nc_u32_e32 v9, 0x800, v0
	v_add_nc_u32_e32 v6, 0x1400, v0
	v_lshrrev_b16 v32, 9, v10
	ds_write_b64 v0, v[7:8] offset:2592
	ds_write_b64 v11, v[12:13] offset:5184
	s_waitcnt lgkmcnt(0)
	s_barrier
	buffer_gl0_inv
	s_barrier
	buffer_gl0_inv
	ds_read2_b64 v[10:13], v0 offset1:162
	ds_read2_b64 v[14:17], v9 offset0:68 offset1:230
	ds_read2_b64 v[18:21], v6 offset0:8 offset1:170
	v_mul_lo_u16 v7, v32, 3
	s_waitcnt lgkmcnt(0)
	s_barrier
	buffer_gl0_inv
	v_mul_u32_u24_sdwa v32, v32, v37 dst_sel:DWORD dst_unused:UNUSED_PAD src0_sel:WORD_0 src1_sel:DWORD
	v_sub_nc_u16 v34, v5, v7
	v_mul_u32_u24_sdwa v7, v34, v33 dst_sel:DWORD dst_unused:UNUSED_PAD src0_sel:BYTE_0 src1_sel:DWORD
	v_lshlrev_b32_sdwa v34, v40, v34 dst_sel:DWORD dst_unused:UNUSED_PAD src0_sel:DWORD src1_sel:BYTE_0
	v_lshlrev_b32_e32 v24, 3, v7
	v_add3_u32 v32, 0, v32, v34
	v_add_f32_e32 v26, v11, v15
	v_add_f32_e32 v8, v14, v18
	v_sub_f32_e32 v25, v15, v19
	v_add_f32_e32 v15, v15, v19
	v_add_f32_e32 v28, v16, v20
	v_sub_f32_e32 v29, v17, v21
	v_add_f32_e32 v30, v13, v17
	v_add_f32_e32 v17, v17, v21
	;; [unrolled: 1-line block ×3, first 2 shown]
	v_sub_f32_e32 v27, v14, v18
	v_fma_f32 v10, -0.5, v8, v10
	v_fma_f32 v11, -0.5, v15, v11
	v_add_f32_e32 v14, v12, v16
	v_sub_f32_e32 v35, v16, v20
	v_fma_f32 v12, -0.5, v28, v12
	v_fmac_f32_e32 v13, -0.5, v17
	v_add_f32_e32 v7, v7, v18
	v_add_f32_e32 v8, v26, v19
	v_fmamk_f32 v16, v25, 0xbf5db3d7, v10
	v_fmamk_f32 v17, v27, 0x3f5db3d7, v11
	v_fmac_f32_e32 v10, 0x3f5db3d7, v25
	v_fmac_f32_e32 v11, 0xbf5db3d7, v27
	v_add_f32_e32 v14, v14, v20
	v_add_f32_e32 v15, v30, v21
	v_fmamk_f32 v18, v29, 0xbf5db3d7, v12
	v_fmamk_f32 v19, v35, 0x3f5db3d7, v13
	v_fmac_f32_e32 v12, 0x3f5db3d7, v29
	v_fmac_f32_e32 v13, 0xbf5db3d7, v35
	ds_write2_b64 v22, v[7:8], v[16:17] offset1:1
	ds_write_b64 v22, v[10:11] offset:16
	ds_write2_b64 v23, v[14:15], v[18:19] offset1:1
	ds_write_b64 v22, v[12:13] offset:3904
	s_waitcnt lgkmcnt(0)
	s_barrier
	buffer_gl0_inv
	s_clause 0x2
	global_load_dwordx4 v[11:14], v24, s[12:13]
	global_load_dwordx4 v[15:18], v24, s[12:13] offset:16
	global_load_dwordx2 v[7:8], v24, s[12:13] offset:32
	v_add_nc_u32_e32 v10, 0xa2, v5
	v_mov_b32_e32 v19, 0xe38f
	v_mul_lo_u16 v20, v31, 57
	ds_read2_b64 v[27:30], v6 offset0:8 offset1:170
	v_mul_u32_u24_sdwa v23, v10, v19 dst_sel:DWORD dst_unused:UNUSED_PAD src0_sel:WORD_0 src1_sel:DWORD
	v_lshrrev_b16 v35, 10, v20
	ds_read2_b64 v[19:22], v0 offset1:162
	v_lshrrev_b32_e32 v36, 20, v23
	ds_read2_b64 v[23:26], v9 offset0:68 offset1:230
	v_mul_lo_u16 v38, v35, 18
	s_waitcnt vmcnt(0) lgkmcnt(0)
	s_barrier
	v_mul_lo_u16 v39, v36, 18
	buffer_gl0_inv
	v_sub_nc_u16 v37, v5, v38
	v_sub_nc_u16 v38, v10, v39
	v_lshlrev_b32_sdwa v39, v41, v37 dst_sel:DWORD dst_unused:UNUSED_PAD src0_sel:DWORD src1_sel:BYTE_0
	v_lshlrev_b32_sdwa v41, v41, v38 dst_sel:DWORD dst_unused:UNUSED_PAD src0_sel:DWORD src1_sel:WORD_0
	v_mul_f32_e32 v34, v12, v22
	v_mul_f32_e32 v12, v12, v21
	;; [unrolled: 1-line block ×10, first 2 shown]
	v_fmac_f32_e32 v34, v11, v21
	v_fma_f32 v11, v11, v22, -v12
	v_fmac_f32_e32 v42, v13, v23
	v_fma_f32 v12, v13, v24, -v14
	v_fma_f32 v13, v15, v26, -v16
	v_fmac_f32_e32 v44, v17, v27
	v_fmac_f32_e32 v45, v7, v29
	v_fma_f32 v7, v7, v30, -v8
	v_fmac_f32_e32 v43, v15, v25
	v_fma_f32 v14, v17, v28, -v18
	v_add_f32_e32 v15, v42, v44
	v_add_f32_e32 v24, v11, v13
	v_sub_f32_e32 v23, v13, v7
	v_add_f32_e32 v13, v13, v7
	v_add_f32_e32 v8, v19, v42
	v_sub_f32_e32 v16, v12, v14
	v_add_f32_e32 v17, v20, v12
	v_add_f32_e32 v12, v12, v14
	v_add_f32_e32 v22, v43, v45
	v_sub_f32_e32 v25, v43, v45
	v_fma_f32 v19, -0.5, v15, v19
	v_fmac_f32_e32 v11, -0.5, v13
	v_sub_f32_e32 v18, v42, v44
	v_add_f32_e32 v21, v34, v43
	v_add_f32_e32 v14, v17, v14
	v_fma_f32 v20, -0.5, v12, v20
	v_fmac_f32_e32 v34, -0.5, v22
	v_fmamk_f32 v17, v16, 0xbf5db3d7, v19
	v_fmac_f32_e32 v19, 0x3f5db3d7, v16
	v_fmamk_f32 v16, v25, 0x3f5db3d7, v11
	v_fmac_f32_e32 v11, 0xbf5db3d7, v25
	v_add_f32_e32 v12, v21, v45
	v_fmamk_f32 v21, v18, 0x3f5db3d7, v20
	v_fmac_f32_e32 v20, 0xbf5db3d7, v18
	v_fmamk_f32 v13, v23, 0xbf5db3d7, v34
	v_fmac_f32_e32 v34, 0x3f5db3d7, v23
	v_mul_f32_e32 v18, 0xbf5db3d7, v16
	v_mul_f32_e32 v23, 0.5, v16
	v_add_f32_e32 v15, v24, v7
	v_mul_f32_e32 v22, 0xbf5db3d7, v11
	v_mul_f32_e32 v24, -0.5, v11
	v_add_f32_e32 v26, v8, v44
	v_fmac_f32_e32 v18, 0.5, v13
	v_fmac_f32_e32 v23, 0x3f5db3d7, v13
	v_fmac_f32_e32 v22, -0.5, v34
	v_fmac_f32_e32 v24, 0x3f5db3d7, v34
	v_add_f32_e32 v7, v26, v12
	v_add_f32_e32 v8, v14, v15
	v_sub_f32_e32 v11, v26, v12
	v_sub_f32_e32 v12, v14, v15
	v_add_f32_e32 v13, v17, v18
	v_add_f32_e32 v14, v21, v23
	;; [unrolled: 1-line block ×4, first 2 shown]
	v_sub_f32_e32 v17, v17, v18
	v_sub_f32_e32 v19, v19, v22
	;; [unrolled: 1-line block ×4, first 2 shown]
	ds_write2_b64 v32, v[7:8], v[13:14] offset1:3
	ds_write2_b64 v32, v[15:16], v[11:12] offset0:6 offset1:9
	ds_write2_b64 v32, v[17:18], v[19:20] offset0:12 offset1:15
	s_waitcnt lgkmcnt(0)
	s_barrier
	buffer_gl0_inv
	s_clause 0x1
	global_load_dwordx4 v[11:14], v39, s[12:13] offset:120
	global_load_dwordx4 v[15:18], v41, s[12:13] offset:120
	v_mul_lo_u16 v7, v31, 19
	ds_read2_b64 v[19:22], v9 offset0:68 offset1:230
	ds_read2_b64 v[23:26], v6 offset0:8 offset1:170
	v_lshlrev_b32_sdwa v27, v40, v37 dst_sel:DWORD dst_unused:UNUSED_PAD src0_sel:DWORD src1_sel:BYTE_0
	v_lshlrev_b32_sdwa v28, v40, v38 dst_sel:DWORD dst_unused:UNUSED_PAD src0_sel:DWORD src1_sel:WORD_0
	v_lshrrev_b16 v39, 10, v7
	v_mov_b32_e32 v7, 0x1b0
	v_mul_lo_u16 v8, v39, 54
	v_mul_u32_u24_sdwa v7, v35, v7 dst_sel:DWORD dst_unused:UNUSED_PAD src0_sel:WORD_0 src1_sel:DWORD
	v_sub_nc_u16 v41, v5, v8
	v_mul_u32_u24_e32 v8, 0x1b0, v36
	v_add3_u32 v32, 0, v7, v27
	v_mul_u32_u24_sdwa v31, v41, v33 dst_sel:DWORD dst_unused:UNUSED_PAD src0_sel:BYTE_0 src1_sel:DWORD
	v_add3_u32 v33, 0, v8, v28
	ds_read2_b64 v[27:30], v0 offset1:162
	s_waitcnt vmcnt(0) lgkmcnt(0)
	s_barrier
	v_lshlrev_b32_e32 v31, 3, v31
	buffer_gl0_inv
	v_mul_f32_e32 v7, v12, v20
	v_mul_f32_e32 v8, v12, v19
	;; [unrolled: 1-line block ×8, first 2 shown]
	v_fmac_f32_e32 v7, v11, v19
	v_fma_f32 v8, v11, v20, -v8
	v_fmac_f32_e32 v12, v13, v23
	v_fma_f32 v13, v13, v24, -v14
	;; [unrolled: 2-line block ×4, first 2 shown]
	v_add_f32_e32 v15, v7, v27
	v_add_f32_e32 v16, v7, v12
	;; [unrolled: 1-line block ×5, first 2 shown]
	v_sub_f32_e32 v17, v8, v13
	v_add_f32_e32 v18, v8, v28
	v_sub_f32_e32 v20, v7, v12
	v_sub_f32_e32 v23, v11, v14
	v_add_f32_e32 v24, v30, v11
	v_add_f32_e32 v7, v15, v12
	v_fma_f32 v11, -0.5, v16, v27
	v_fma_f32 v12, -0.5, v19, v28
	v_add_f32_e32 v21, v29, v34
	v_sub_f32_e32 v26, v34, v35
	v_fma_f32 v29, -0.5, v22, v29
	v_fmac_f32_e32 v30, -0.5, v25
	v_add_f32_e32 v8, v18, v13
	v_fmamk_f32 v15, v17, 0xbf5db3d7, v11
	v_fmamk_f32 v16, v20, 0x3f5db3d7, v12
	v_fmac_f32_e32 v11, 0x3f5db3d7, v17
	v_fmac_f32_e32 v12, 0xbf5db3d7, v20
	v_add_f32_e32 v13, v21, v35
	v_add_f32_e32 v14, v24, v14
	v_fmamk_f32 v17, v23, 0xbf5db3d7, v29
	v_fmamk_f32 v18, v26, 0x3f5db3d7, v30
	v_fmac_f32_e32 v29, 0x3f5db3d7, v23
	v_fmac_f32_e32 v30, 0xbf5db3d7, v26
	ds_write2_b64 v32, v[7:8], v[15:16] offset1:18
	ds_write_b64 v32, v[11:12] offset:288
	ds_write2_b64 v33, v[13:14], v[17:18] offset1:18
	ds_write_b64 v33, v[29:30] offset:288
	s_waitcnt lgkmcnt(0)
	s_barrier
	buffer_gl0_inv
	s_clause 0x2
	global_load_dwordx4 v[11:14], v31, s[12:13] offset:408
	global_load_dwordx4 v[15:18], v31, s[12:13] offset:424
	global_load_dwordx2 v[31:32], v31, s[12:13] offset:440
	v_lshlrev_b32_e32 v7, 1, v5
	v_mov_b32_e32 v8, 0
	v_lshlrev_b64 v[19:20], 3, v[7:8]
	v_lshlrev_b32_e32 v7, 1, v10
	v_mov_b32_e32 v10, 0xa20
	v_lshlrev_b64 v[33:34], 3, v[7:8]
	v_add_co_u32 v7, s0, s12, v19
	v_add_co_ci_u32_e64 v36, s0, s13, v20, s0
	ds_read2_b64 v[19:22], v0 offset1:162
	ds_read2_b64 v[23:26], v9 offset0:68 offset1:230
	ds_read2_b64 v[27:30], v6 offset0:8 offset1:170
	v_mul_u32_u24_sdwa v10, v39, v10 dst_sel:DWORD dst_unused:UNUSED_PAD src0_sel:WORD_0 src1_sel:DWORD
	v_add_co_u32 v35, s0, 0x800, v7
	v_lshlrev_b32_sdwa v7, v40, v41 dst_sel:DWORD dst_unused:UNUSED_PAD src0_sel:DWORD src1_sel:BYTE_0
	v_add_co_ci_u32_e64 v36, s0, 0, v36, s0
	v_add_co_u32 v33, s0, s12, v33
	v_add3_u32 v7, 0, v10, v7
	v_add_co_ci_u32_e64 v34, s0, s13, v34, s0
	v_add_co_u32 v33, s0, 0x800, v33
	v_add_nc_u32_e32 v37, 0x400, v7
	v_add_co_ci_u32_e64 v34, s0, 0, v34, s0
	s_waitcnt vmcnt(0) lgkmcnt(0)
	s_barrier
	buffer_gl0_inv
	v_mul_f32_e32 v38, v12, v22
	v_mul_f32_e32 v10, v12, v21
	;; [unrolled: 1-line block ×10, first 2 shown]
	v_fmac_f32_e32 v38, v11, v21
	v_fma_f32 v21, v11, v22, -v10
	v_fmac_f32_e32 v12, v13, v23
	v_fma_f32 v10, v13, v24, -v14
	v_fma_f32 v11, v15, v26, -v16
	;; [unrolled: 1-line block ×4, first 2 shown]
	v_fmac_f32_e32 v39, v15, v25
	v_fmac_f32_e32 v40, v17, v27
	;; [unrolled: 1-line block ×3, first 2 shown]
	v_sub_f32_e32 v17, v10, v13
	v_add_f32_e32 v18, v20, v10
	v_add_f32_e32 v10, v10, v13
	v_sub_f32_e32 v24, v11, v14
	v_add_f32_e32 v25, v21, v11
	v_add_f32_e32 v11, v11, v14
	v_add_f32_e32 v15, v19, v12
	v_add_f32_e32 v16, v12, v40
	v_sub_f32_e32 v12, v12, v40
	v_add_f32_e32 v22, v38, v39
	v_add_f32_e32 v23, v39, v41
	v_sub_f32_e32 v26, v39, v41
	v_fma_f32 v27, -0.5, v10, v20
	v_fmac_f32_e32 v21, -0.5, v11
	v_fma_f32 v19, -0.5, v16, v19
	v_add_f32_e32 v16, v22, v41
	v_fmac_f32_e32 v38, -0.5, v23
	v_fmamk_f32 v22, v12, 0x3f5db3d7, v27
	v_fmac_f32_e32 v27, 0xbf5db3d7, v12
	v_fmamk_f32 v12, v26, 0x3f5db3d7, v21
	v_fmac_f32_e32 v21, 0xbf5db3d7, v26
	v_add_f32_e32 v13, v18, v13
	v_fmamk_f32 v18, v17, 0xbf5db3d7, v19
	v_fmac_f32_e32 v19, 0x3f5db3d7, v17
	v_fmamk_f32 v17, v24, 0xbf5db3d7, v38
	v_fmac_f32_e32 v38, 0x3f5db3d7, v24
	v_mul_f32_e32 v20, 0xbf5db3d7, v12
	v_mul_f32_e32 v24, 0.5, v12
	v_mul_f32_e32 v23, 0xbf5db3d7, v21
	v_mul_f32_e32 v21, -0.5, v21
	v_add_f32_e32 v15, v15, v40
	v_add_f32_e32 v14, v25, v14
	v_fmac_f32_e32 v20, 0.5, v17
	v_fmac_f32_e32 v24, 0x3f5db3d7, v17
	v_fmac_f32_e32 v23, -0.5, v38
	v_fmac_f32_e32 v21, 0x3f5db3d7, v38
	v_add_f32_e32 v10, v15, v16
	v_add_f32_e32 v11, v13, v14
	v_sub_f32_e32 v12, v15, v16
	v_sub_f32_e32 v13, v13, v14
	v_add_f32_e32 v14, v18, v20
	v_add_f32_e32 v15, v22, v24
	;; [unrolled: 1-line block ×4, first 2 shown]
	v_sub_f32_e32 v18, v18, v20
	v_sub_f32_e32 v20, v19, v23
	;; [unrolled: 1-line block ×4, first 2 shown]
	ds_write2_b64 v7, v[10:11], v[14:15] offset1:54
	ds_write2_b64 v7, v[16:17], v[12:13] offset0:108 offset1:162
	ds_write2_b64 v37, v[18:19], v[20:21] offset0:88 offset1:142
	s_waitcnt lgkmcnt(0)
	s_barrier
	buffer_gl0_inv
	s_clause 0x1
	global_load_dwordx4 v[10:13], v[35:36], off offset:520
	global_load_dwordx4 v[14:17], v[33:34], off offset:520
	ds_read2_b64 v[18:21], v9 offset0:68 offset1:230
	ds_read2_b64 v[22:25], v6 offset0:8 offset1:170
	ds_read2_b64 v[26:29], v0 offset1:162
	s_waitcnt vmcnt(0) lgkmcnt(0)
	s_barrier
	buffer_gl0_inv
	v_mul_f32_e32 v7, v11, v19
	v_mul_f32_e32 v11, v11, v18
	;; [unrolled: 1-line block ×8, first 2 shown]
	v_fmac_f32_e32 v7, v10, v18
	v_fma_f32 v10, v10, v19, -v11
	v_fmac_f32_e32 v30, v12, v22
	v_fma_f32 v11, v12, v23, -v13
	;; [unrolled: 2-line block ×4, first 2 shown]
	v_add_f32_e32 v13, v7, v26
	v_add_f32_e32 v14, v7, v30
	;; [unrolled: 1-line block ×8, first 2 shown]
	v_sub_f32_e32 v17, v10, v11
	v_sub_f32_e32 v7, v7, v30
	;; [unrolled: 1-line block ×4, first 2 shown]
	v_add_f32_e32 v10, v13, v30
	v_fma_f32 v12, -0.5, v14, v26
	v_fma_f32 v13, -0.5, v18, v27
	;; [unrolled: 1-line block ×3, first 2 shown]
	v_fmac_f32_e32 v29, -0.5, v23
	v_add_f32_e32 v11, v16, v11
	v_add_f32_e32 v14, v19, v32
	;; [unrolled: 1-line block ×3, first 2 shown]
	v_fmamk_f32 v16, v17, 0xbf5db3d7, v12
	v_fmac_f32_e32 v12, 0x3f5db3d7, v17
	v_fmamk_f32 v17, v7, 0x3f5db3d7, v13
	v_fmamk_f32 v18, v21, 0xbf5db3d7, v28
	;; [unrolled: 1-line block ×3, first 2 shown]
	v_fmac_f32_e32 v13, 0xbf5db3d7, v7
	v_fmac_f32_e32 v28, 0x3f5db3d7, v21
	;; [unrolled: 1-line block ×3, first 2 shown]
	ds_write2_b64 v0, v[10:11], v[14:15] offset1:162
	ds_write2_b64 v9, v[16:17], v[18:19] offset0:68 offset1:230
	ds_write2_b64 v6, v[12:13], v[28:29] offset0:8 offset1:170
	s_waitcnt lgkmcnt(0)
	s_barrier
	buffer_gl0_inv
	s_and_saveexec_b32 s0, vcc_lo
	s_cbranch_execz .LBB0_21
; %bb.20:
	v_mul_lo_u32 v0, s3, v3
	v_mul_lo_u32 v4, s2, v4
	v_mad_u64_u32 v[9:10], null, s2, v3, 0
	v_lshl_add_u32 v17, v5, 3, 0
	v_lshlrev_b64 v[11:12], 3, v[1:2]
	v_mov_b32_e32 v6, v8
	v_add_nc_u32_e32 v7, 0xa2, v5
	v_add3_u32 v10, v10, v4, v0
	ds_read2_b64 v[0:3], v17 offset1:162
	v_lshlrev_b64 v[13:14], 3, v[5:6]
	v_lshlrev_b64 v[15:16], 3, v[7:8]
	v_add_nc_u32_e32 v7, 0x144, v5
	v_lshlrev_b64 v[9:10], 3, v[9:10]
	v_add_nc_u32_e32 v4, 0x800, v17
	v_add_nc_u32_e32 v6, 0x1400, v17
	v_lshlrev_b64 v[17:18], 3, v[7:8]
	v_add_nc_u32_e32 v7, 0x1e6, v5
	v_add_co_u32 v9, vcc_lo, s10, v9
	v_add_co_ci_u32_e32 v10, vcc_lo, s11, v10, vcc_lo
	v_add_co_u32 v23, vcc_lo, v9, v11
	v_add_co_ci_u32_e32 v24, vcc_lo, v10, v12, vcc_lo
	;; [unrolled: 2-line block ×4, first 2 shown]
	s_waitcnt lgkmcnt(0)
	global_store_dwordx2 v[9:10], v[0:1], off
	ds_read2_b64 v[9:12], v4 offset0:68 offset1:230
	v_lshlrev_b64 v[0:1], 3, v[7:8]
	v_add_nc_u32_e32 v7, 0x288, v5
	ds_read2_b64 v[13:16], v6 offset0:8 offset1:170
	v_add_co_u32 v17, vcc_lo, v23, v17
	v_add_co_ci_u32_e32 v18, vcc_lo, v24, v18, vcc_lo
	v_lshlrev_b64 v[21:22], 3, v[7:8]
	v_add_nc_u32_e32 v7, 0x32a, v5
	v_add_co_u32 v0, vcc_lo, v23, v0
	v_add_co_ci_u32_e32 v1, vcc_lo, v24, v1, vcc_lo
	v_lshlrev_b64 v[4:5], 3, v[7:8]
	v_add_co_u32 v6, vcc_lo, v23, v21
	v_add_co_ci_u32_e32 v7, vcc_lo, v24, v22, vcc_lo
	v_add_co_u32 v4, vcc_lo, v23, v4
	v_add_co_ci_u32_e32 v5, vcc_lo, v24, v5, vcc_lo
	global_store_dwordx2 v[19:20], v[2:3], off
	s_waitcnt lgkmcnt(1)
	global_store_dwordx2 v[17:18], v[9:10], off
	global_store_dwordx2 v[0:1], v[11:12], off
	s_waitcnt lgkmcnt(0)
	global_store_dwordx2 v[6:7], v[13:14], off
	global_store_dwordx2 v[4:5], v[15:16], off
.LBB0_21:
	s_endpgm
	.section	.rodata,"a",@progbits
	.p2align	6, 0x0
	.amdhsa_kernel fft_rtc_back_len972_factors_3_6_3_6_3_wgs_162_tpt_162_halfLds_sp_op_CI_CI_unitstride_sbrr_C2R_dirReg
		.amdhsa_group_segment_fixed_size 0
		.amdhsa_private_segment_fixed_size 0
		.amdhsa_kernarg_size 104
		.amdhsa_user_sgpr_count 6
		.amdhsa_user_sgpr_private_segment_buffer 1
		.amdhsa_user_sgpr_dispatch_ptr 0
		.amdhsa_user_sgpr_queue_ptr 0
		.amdhsa_user_sgpr_kernarg_segment_ptr 1
		.amdhsa_user_sgpr_dispatch_id 0
		.amdhsa_user_sgpr_flat_scratch_init 0
		.amdhsa_user_sgpr_private_segment_size 0
		.amdhsa_wavefront_size32 1
		.amdhsa_uses_dynamic_stack 0
		.amdhsa_system_sgpr_private_segment_wavefront_offset 0
		.amdhsa_system_sgpr_workgroup_id_x 1
		.amdhsa_system_sgpr_workgroup_id_y 0
		.amdhsa_system_sgpr_workgroup_id_z 0
		.amdhsa_system_sgpr_workgroup_info 0
		.amdhsa_system_vgpr_workitem_id 0
		.amdhsa_next_free_vgpr 46
		.amdhsa_next_free_sgpr 27
		.amdhsa_reserve_vcc 1
		.amdhsa_reserve_flat_scratch 0
		.amdhsa_float_round_mode_32 0
		.amdhsa_float_round_mode_16_64 0
		.amdhsa_float_denorm_mode_32 3
		.amdhsa_float_denorm_mode_16_64 3
		.amdhsa_dx10_clamp 1
		.amdhsa_ieee_mode 1
		.amdhsa_fp16_overflow 0
		.amdhsa_workgroup_processor_mode 1
		.amdhsa_memory_ordered 1
		.amdhsa_forward_progress 0
		.amdhsa_shared_vgpr_count 0
		.amdhsa_exception_fp_ieee_invalid_op 0
		.amdhsa_exception_fp_denorm_src 0
		.amdhsa_exception_fp_ieee_div_zero 0
		.amdhsa_exception_fp_ieee_overflow 0
		.amdhsa_exception_fp_ieee_underflow 0
		.amdhsa_exception_fp_ieee_inexact 0
		.amdhsa_exception_int_div_zero 0
	.end_amdhsa_kernel
	.text
.Lfunc_end0:
	.size	fft_rtc_back_len972_factors_3_6_3_6_3_wgs_162_tpt_162_halfLds_sp_op_CI_CI_unitstride_sbrr_C2R_dirReg, .Lfunc_end0-fft_rtc_back_len972_factors_3_6_3_6_3_wgs_162_tpt_162_halfLds_sp_op_CI_CI_unitstride_sbrr_C2R_dirReg
                                        ; -- End function
	.section	.AMDGPU.csdata,"",@progbits
; Kernel info:
; codeLenInByte = 4824
; NumSgprs: 29
; NumVgprs: 46
; ScratchSize: 0
; MemoryBound: 0
; FloatMode: 240
; IeeeMode: 1
; LDSByteSize: 0 bytes/workgroup (compile time only)
; SGPRBlocks: 3
; VGPRBlocks: 5
; NumSGPRsForWavesPerEU: 29
; NumVGPRsForWavesPerEU: 46
; Occupancy: 15
; WaveLimiterHint : 1
; COMPUTE_PGM_RSRC2:SCRATCH_EN: 0
; COMPUTE_PGM_RSRC2:USER_SGPR: 6
; COMPUTE_PGM_RSRC2:TRAP_HANDLER: 0
; COMPUTE_PGM_RSRC2:TGID_X_EN: 1
; COMPUTE_PGM_RSRC2:TGID_Y_EN: 0
; COMPUTE_PGM_RSRC2:TGID_Z_EN: 0
; COMPUTE_PGM_RSRC2:TIDIG_COMP_CNT: 0
	.text
	.p2alignl 6, 3214868480
	.fill 48, 4, 3214868480
	.type	__hip_cuid_b12a1fa307523247,@object ; @__hip_cuid_b12a1fa307523247
	.section	.bss,"aw",@nobits
	.globl	__hip_cuid_b12a1fa307523247
__hip_cuid_b12a1fa307523247:
	.byte	0                               ; 0x0
	.size	__hip_cuid_b12a1fa307523247, 1

	.ident	"AMD clang version 19.0.0git (https://github.com/RadeonOpenCompute/llvm-project roc-6.4.0 25133 c7fe45cf4b819c5991fe208aaa96edf142730f1d)"
	.section	".note.GNU-stack","",@progbits
	.addrsig
	.addrsig_sym __hip_cuid_b12a1fa307523247
	.amdgpu_metadata
---
amdhsa.kernels:
  - .args:
      - .actual_access:  read_only
        .address_space:  global
        .offset:         0
        .size:           8
        .value_kind:     global_buffer
      - .offset:         8
        .size:           8
        .value_kind:     by_value
      - .actual_access:  read_only
        .address_space:  global
        .offset:         16
        .size:           8
        .value_kind:     global_buffer
      - .actual_access:  read_only
        .address_space:  global
        .offset:         24
        .size:           8
        .value_kind:     global_buffer
      - .actual_access:  read_only
        .address_space:  global
        .offset:         32
        .size:           8
        .value_kind:     global_buffer
      - .offset:         40
        .size:           8
        .value_kind:     by_value
      - .actual_access:  read_only
        .address_space:  global
        .offset:         48
        .size:           8
        .value_kind:     global_buffer
      - .actual_access:  read_only
        .address_space:  global
        .offset:         56
        .size:           8
        .value_kind:     global_buffer
      - .offset:         64
        .size:           4
        .value_kind:     by_value
      - .actual_access:  read_only
        .address_space:  global
        .offset:         72
        .size:           8
        .value_kind:     global_buffer
      - .actual_access:  read_only
        .address_space:  global
        .offset:         80
        .size:           8
        .value_kind:     global_buffer
      - .actual_access:  read_only
        .address_space:  global
        .offset:         88
        .size:           8
        .value_kind:     global_buffer
      - .actual_access:  write_only
        .address_space:  global
        .offset:         96
        .size:           8
        .value_kind:     global_buffer
    .group_segment_fixed_size: 0
    .kernarg_segment_align: 8
    .kernarg_segment_size: 104
    .language:       OpenCL C
    .language_version:
      - 2
      - 0
    .max_flat_workgroup_size: 162
    .name:           fft_rtc_back_len972_factors_3_6_3_6_3_wgs_162_tpt_162_halfLds_sp_op_CI_CI_unitstride_sbrr_C2R_dirReg
    .private_segment_fixed_size: 0
    .sgpr_count:     29
    .sgpr_spill_count: 0
    .symbol:         fft_rtc_back_len972_factors_3_6_3_6_3_wgs_162_tpt_162_halfLds_sp_op_CI_CI_unitstride_sbrr_C2R_dirReg.kd
    .uniform_work_group_size: 1
    .uses_dynamic_stack: false
    .vgpr_count:     46
    .vgpr_spill_count: 0
    .wavefront_size: 32
    .workgroup_processor_mode: 1
amdhsa.target:   amdgcn-amd-amdhsa--gfx1030
amdhsa.version:
  - 1
  - 2
...

	.end_amdgpu_metadata
